;; amdgpu-corpus repo=ROCm/rocFFT kind=compiled arch=gfx906 opt=O3
	.text
	.amdgcn_target "amdgcn-amd-amdhsa--gfx906"
	.amdhsa_code_object_version 6
	.protected	bluestein_single_back_len180_dim1_dp_op_CI_CI ; -- Begin function bluestein_single_back_len180_dim1_dp_op_CI_CI
	.globl	bluestein_single_back_len180_dim1_dp_op_CI_CI
	.p2align	8
	.type	bluestein_single_back_len180_dim1_dp_op_CI_CI,@function
bluestein_single_back_len180_dim1_dp_op_CI_CI: ; @bluestein_single_back_len180_dim1_dp_op_CI_CI
; %bb.0:
	s_load_dwordx4 s[0:3], s[4:5], 0x28
	v_mul_u32_u24_e32 v1, 0x445, v0
	v_lshrrev_b32_e32 v1, 16, v1
	v_lshl_add_u32 v68, s6, 2, v1
	v_mov_b32_e32 v69, 0
	s_waitcnt lgkmcnt(0)
	v_cmp_gt_u64_e32 vcc, s[0:1], v[68:69]
	s_and_saveexec_b64 s[0:1], vcc
	s_cbranch_execz .LBB0_23
; %bb.1:
	s_load_dwordx2 s[14:15], s[4:5], 0x0
	s_load_dwordx2 s[12:13], s[4:5], 0x38
	v_mul_lo_u16_e32 v2, 60, v1
	v_sub_u16_e32 v85, v0, v2
	v_and_b32_e32 v0, 3, v1
	v_mul_u32_u24_e32 v87, 0xb4, v0
	v_cmp_gt_u16_e32 vcc, 18, v85
	v_lshlrev_b32_e32 v86, 4, v85
	v_lshlrev_b32_e32 v88, 4, v87
	s_and_saveexec_b64 s[6:7], vcc
	s_cbranch_execz .LBB0_3
; %bb.2:
	s_load_dwordx2 s[0:1], s[4:5], 0x18
	s_waitcnt lgkmcnt(0)
	s_load_dwordx4 s[8:11], s[0:1], 0x0
	s_waitcnt lgkmcnt(0)
	v_mad_u64_u32 v[0:1], s[0:1], s10, v68, 0
	v_mad_u64_u32 v[2:3], s[0:1], s8, v85, 0
	;; [unrolled: 1-line block ×4, first 2 shown]
	v_mov_b32_e32 v1, v4
	v_lshlrev_b64 v[0:1], 4, v[0:1]
	v_mov_b32_e32 v3, v5
	v_mov_b32_e32 v6, s3
	v_lshlrev_b64 v[2:3], 4, v[2:3]
	v_add_co_u32_e64 v0, s[0:1], s2, v0
	v_addc_co_u32_e64 v1, s[0:1], v6, v1, s[0:1]
	v_add_co_u32_e64 v16, s[0:1], v0, v2
	v_addc_co_u32_e64 v17, s[0:1], v1, v3, s[0:1]
	s_mul_i32 s0, s9, 0x120
	s_mul_hi_u32 s2, s8, 0x120
	s_add_i32 s2, s2, s0
	s_mul_i32 s3, s8, 0x120
	v_mov_b32_e32 v0, s2
	v_add_co_u32_e64 v18, s[0:1], s3, v16
	v_addc_co_u32_e64 v19, s[0:1], v17, v0, s[0:1]
	global_load_dwordx4 v[0:3], v[16:17], off
	global_load_dwordx4 v[4:7], v[18:19], off
	global_load_dwordx4 v[8:11], v86, s[14:15]
	global_load_dwordx4 v[12:15], v86, s[14:15] offset:288
	v_mov_b32_e32 v16, s2
	v_add_co_u32_e64 v32, s[0:1], s3, v18
	v_addc_co_u32_e64 v33, s[0:1], v19, v16, s[0:1]
	v_mov_b32_e32 v24, s2
	v_add_co_u32_e64 v34, s[0:1], s3, v32
	v_addc_co_u32_e64 v35, s[0:1], v33, v24, s[0:1]
	global_load_dwordx4 v[16:19], v86, s[14:15] offset:576
	global_load_dwordx4 v[20:23], v86, s[14:15] offset:864
	global_load_dwordx4 v[24:27], v[32:33], off
	global_load_dwordx4 v[28:31], v[34:35], off
	v_mov_b32_e32 v32, s2
	v_add_co_u32_e64 v44, s[0:1], s3, v34
	v_addc_co_u32_e64 v45, s[0:1], v35, v32, s[0:1]
	v_mov_b32_e32 v46, s2
	v_add_co_u32_e64 v48, s[0:1], s3, v44
	v_addc_co_u32_e64 v49, s[0:1], v45, v46, s[0:1]
	global_load_dwordx4 v[32:35], v[44:45], off
	global_load_dwordx4 v[36:39], v86, s[14:15] offset:1152
	global_load_dwordx4 v[40:43], v86, s[14:15] offset:1440
	v_mov_b32_e32 v50, s2
	v_add_co_u32_e64 v60, s[0:1], s3, v48
	v_addc_co_u32_e64 v61, s[0:1], v49, v50, s[0:1]
	v_mov_b32_e32 v62, s2
	v_add_co_u32_e64 v64, s[0:1], s3, v60
	v_addc_co_u32_e64 v65, s[0:1], v61, v62, s[0:1]
	global_load_dwordx4 v[44:47], v[48:49], off
	v_mov_b32_e32 v66, s2
	v_add_co_u32_e64 v77, s[0:1], s3, v64
	v_addc_co_u32_e64 v78, s[0:1], v65, v66, s[0:1]
	global_load_dwordx4 v[48:51], v[60:61], off
	global_load_dwordx4 v[52:55], v86, s[14:15] offset:1728
	global_load_dwordx4 v[56:59], v86, s[14:15] offset:2016
	v_mov_b32_e32 v79, s2
	global_load_dwordx4 v[60:63], v[64:65], off
	s_nop 0
	global_load_dwordx4 v[64:67], v[77:78], off
	global_load_dwordx4 v[69:72], v86, s[14:15] offset:2304
	global_load_dwordx4 v[73:76], v86, s[14:15] offset:2592
	v_add_co_u32_e64 v77, s[0:1], s3, v77
	v_addc_co_u32_e64 v78, s[0:1], v78, v79, s[0:1]
	global_load_dwordx4 v[77:80], v[77:78], off
	s_waitcnt vmcnt(17)
	v_mul_f64 v[81:82], v[2:3], v[10:11]
	v_mul_f64 v[10:11], v[0:1], v[10:11]
	s_waitcnt vmcnt(16)
	v_mul_f64 v[83:84], v[6:7], v[14:15]
	v_mul_f64 v[14:15], v[4:5], v[14:15]
	v_fma_f64 v[0:1], v[0:1], v[8:9], v[81:82]
	v_fma_f64 v[2:3], v[2:3], v[8:9], -v[10:11]
	v_fma_f64 v[4:5], v[4:5], v[12:13], v[83:84]
	v_fma_f64 v[6:7], v[6:7], v[12:13], -v[14:15]
	s_waitcnt vmcnt(13)
	v_mul_f64 v[89:90], v[26:27], v[18:19]
	v_mul_f64 v[18:19], v[24:25], v[18:19]
	s_waitcnt vmcnt(12)
	v_mul_f64 v[91:92], v[30:31], v[22:23]
	v_mul_f64 v[22:23], v[28:29], v[22:23]
	v_fma_f64 v[8:9], v[24:25], v[16:17], v[89:90]
	v_fma_f64 v[10:11], v[26:27], v[16:17], -v[18:19]
	v_fma_f64 v[12:13], v[28:29], v[20:21], v[91:92]
	s_waitcnt vmcnt(10)
	v_mul_f64 v[93:94], v[34:35], v[38:39]
	v_mul_f64 v[38:39], v[32:33], v[38:39]
	v_fma_f64 v[14:15], v[30:31], v[20:21], -v[22:23]
	v_fma_f64 v[16:17], v[32:33], v[36:37], v[93:94]
	v_fma_f64 v[18:19], v[34:35], v[36:37], -v[38:39]
	s_waitcnt vmcnt(8)
	v_mul_f64 v[95:96], v[46:47], v[42:43]
	v_mul_f64 v[42:43], v[44:45], v[42:43]
	s_waitcnt vmcnt(6)
	v_mul_f64 v[24:25], v[50:51], v[54:55]
	v_mul_f64 v[26:27], v[48:49], v[54:55]
	;; [unrolled: 3-line block ×4, first 2 shown]
	v_fma_f64 v[20:21], v[44:45], v[40:41], v[95:96]
	v_fma_f64 v[22:23], v[46:47], v[40:41], -v[42:43]
	s_waitcnt vmcnt(0)
	v_mul_f64 v[36:37], v[79:80], v[75:76]
	v_mul_f64 v[38:39], v[77:78], v[75:76]
	v_fma_f64 v[24:25], v[48:49], v[52:53], v[24:25]
	v_fma_f64 v[26:27], v[50:51], v[52:53], -v[26:27]
	v_fma_f64 v[28:29], v[60:61], v[56:57], v[28:29]
	v_fma_f64 v[30:31], v[62:63], v[56:57], -v[30:31]
	v_lshl_add_u32 v40, v85, 4, v88
	v_fma_f64 v[32:33], v[64:65], v[69:70], v[32:33]
	v_fma_f64 v[34:35], v[66:67], v[69:70], -v[34:35]
	ds_write_b128 v40, v[0:3]
	v_add_u32_e32 v0, v88, v86
	v_fma_f64 v[36:37], v[77:78], v[73:74], v[36:37]
	v_fma_f64 v[38:39], v[79:80], v[73:74], -v[38:39]
	ds_write_b128 v0, v[4:7] offset:288
	ds_write_b128 v0, v[8:11] offset:576
	;; [unrolled: 1-line block ×9, first 2 shown]
.LBB0_3:
	s_or_b64 exec, exec, s[6:7]
	s_waitcnt lgkmcnt(0)
	s_barrier
	s_waitcnt lgkmcnt(0)
                                        ; implicit-def: $vgpr24_vgpr25
                                        ; implicit-def: $vgpr0_vgpr1
                                        ; implicit-def: $vgpr20_vgpr21
                                        ; implicit-def: $vgpr4_vgpr5
                                        ; implicit-def: $vgpr28_vgpr29
                                        ; implicit-def: $vgpr8_vgpr9
                                        ; implicit-def: $vgpr32_vgpr33
                                        ; implicit-def: $vgpr12_vgpr13
                                        ; implicit-def: $vgpr36_vgpr37
                                        ; implicit-def: $vgpr16_vgpr17
	s_and_saveexec_b64 s[0:1], vcc
	s_cbranch_execz .LBB0_5
; %bb.4:
	v_lshl_add_u32 v16, v87, 4, v86
	ds_read_b128 v[24:27], v16
	ds_read_b128 v[0:3], v16 offset:288
	ds_read_b128 v[20:23], v16 offset:576
	;; [unrolled: 1-line block ×9, first 2 shown]
.LBB0_5:
	s_or_b64 exec, exec, s[0:1]
	s_waitcnt lgkmcnt(3)
	v_add_f64 v[40:41], v[28:29], v[32:33]
	s_waitcnt lgkmcnt(1)
	v_add_f64 v[42:43], v[22:23], -v[38:39]
	s_mov_b32 s0, 0x134454ff
	s_mov_b32 s1, 0x3fee6f0e
	;; [unrolled: 1-line block ×4, first 2 shown]
	v_add_f64 v[44:45], v[30:31], -v[34:35]
	v_add_f64 v[46:47], v[20:21], -v[28:29]
	v_fma_f64 v[40:41], v[40:41], -0.5, v[24:25]
	v_add_f64 v[48:49], v[20:21], v[36:37]
	v_add_f64 v[50:51], v[36:37], -v[32:33]
	s_mov_b32 s8, 0x4755a5e
	s_mov_b32 s9, 0x3fe2cf23
	;; [unrolled: 1-line block ×4, first 2 shown]
	v_add_f64 v[54:55], v[30:31], v[34:35]
	v_fma_f64 v[52:53], v[42:43], s[0:1], v[40:41]
	v_fma_f64 v[40:41], v[42:43], s[2:3], v[40:41]
	v_add_f64 v[58:59], v[24:25], v[20:21]
	v_fma_f64 v[24:25], v[48:49], -0.5, v[24:25]
	v_add_f64 v[46:47], v[46:47], v[50:51]
	s_mov_b32 s10, 0x372fe950
	s_mov_b32 s11, 0x3fd3c6ef
	v_add_f64 v[50:51], v[28:29], -v[20:21]
	v_fma_f64 v[48:49], v[44:45], s[8:9], v[52:53]
	v_fma_f64 v[40:41], v[44:45], s[6:7], v[40:41]
	v_add_f64 v[52:53], v[32:33], -v[36:37]
	v_fma_f64 v[54:55], v[54:55], -0.5, v[26:27]
	v_fma_f64 v[60:61], v[44:45], s[2:3], v[24:25]
	v_fma_f64 v[24:25], v[44:45], s[0:1], v[24:25]
	v_add_f64 v[44:45], v[26:27], v[22:23]
	v_add_f64 v[20:21], v[20:21], -v[36:37]
	v_fma_f64 v[62:63], v[46:47], s[10:11], v[48:49]
	v_fma_f64 v[64:65], v[46:47], s[10:11], v[40:41]
	v_add_f64 v[40:41], v[58:59], v[28:29]
	v_add_f64 v[48:49], v[50:51], v[52:53]
	v_add_f64 v[50:51], v[22:23], -v[30:31]
	v_add_f64 v[52:53], v[38:39], -v[34:35]
	v_add_f64 v[44:45], v[44:45], v[30:31]
	v_add_f64 v[28:29], v[28:29], -v[32:33]
	v_add_f64 v[56:57], v[22:23], v[38:39]
	v_fma_f64 v[46:47], v[42:43], s[8:9], v[60:61]
	v_add_f64 v[40:41], v[40:41], v[32:33]
	v_fma_f64 v[32:33], v[20:21], s[2:3], v[54:55]
	v_fma_f64 v[24:25], v[42:43], s[6:7], v[24:25]
	v_add_f64 v[42:43], v[8:9], v[12:13]
	v_add_f64 v[22:23], v[30:31], -v[22:23]
	v_add_f64 v[30:31], v[50:51], v[52:53]
	v_fma_f64 v[26:27], v[56:57], -0.5, v[26:27]
	v_fma_f64 v[54:55], v[20:21], s[0:1], v[54:55]
	v_add_f64 v[36:37], v[40:41], v[36:37]
	v_add_f64 v[40:41], v[44:45], v[34:35]
	v_fma_f64 v[32:33], v[28:29], s[6:7], v[32:33]
	v_fma_f64 v[56:57], v[48:49], s[10:11], v[46:47]
	v_fma_f64 v[42:43], v[42:43], -0.5, v[0:1]
	s_waitcnt lgkmcnt(0)
	v_add_f64 v[46:47], v[6:7], -v[18:19]
	v_fma_f64 v[58:59], v[48:49], s[10:11], v[24:25]
	v_add_f64 v[24:25], v[34:35], -v[38:39]
	v_fma_f64 v[44:45], v[28:29], s[8:9], v[54:55]
	v_add_f64 v[34:35], v[40:41], v[38:39]
	v_fma_f64 v[38:39], v[30:31], s[10:11], v[32:33]
	v_add_f64 v[32:33], v[4:5], v[16:17]
	v_fma_f64 v[40:41], v[28:29], s[0:1], v[26:27]
	v_fma_f64 v[26:27], v[28:29], s[2:3], v[26:27]
	;; [unrolled: 1-line block ×3, first 2 shown]
	v_add_f64 v[48:49], v[10:11], -v[14:15]
	v_add_f64 v[50:51], v[4:5], -v[8:9]
	;; [unrolled: 1-line block ×3, first 2 shown]
	v_fma_f64 v[42:43], v[46:47], s[2:3], v[42:43]
	v_fma_f64 v[32:33], v[32:33], -0.5, v[0:1]
	v_fma_f64 v[60:61], v[30:31], s[10:11], v[44:45]
	v_add_f64 v[22:23], v[22:23], v[24:25]
	v_fma_f64 v[24:25], v[20:21], s[6:7], v[40:41]
	v_fma_f64 v[20:21], v[20:21], s[8:9], v[26:27]
	;; [unrolled: 1-line block ×3, first 2 shown]
	v_add_f64 v[28:29], v[50:51], v[52:53]
	v_fma_f64 v[30:31], v[48:49], s[6:7], v[42:43]
	v_fma_f64 v[40:41], v[48:49], s[2:3], v[32:33]
	;; [unrolled: 1-line block ×3, first 2 shown]
	v_add_f64 v[48:49], v[6:7], v[18:19]
	v_add_f64 v[44:45], v[10:11], v[14:15]
	v_fma_f64 v[66:67], v[22:23], s[10:11], v[24:25]
	v_fma_f64 v[69:70], v[22:23], s[10:11], v[20:21]
	v_add_f64 v[0:1], v[0:1], v[4:5]
	v_fma_f64 v[22:23], v[28:29], s[10:11], v[26:27]
	v_fma_f64 v[24:25], v[28:29], s[10:11], v[30:31]
	v_add_f64 v[28:29], v[8:9], -v[12:13]
	v_fma_f64 v[26:27], v[48:49], -0.5, v[2:3]
	v_add_f64 v[42:43], v[8:9], -v[4:5]
	v_add_f64 v[50:51], v[12:13], -v[16:17]
	v_fma_f64 v[20:21], v[44:45], -0.5, v[2:3]
	v_add_f64 v[4:5], v[4:5], -v[16:17]
	v_add_f64 v[2:3], v[2:3], v[6:7]
	v_add_f64 v[0:1], v[0:1], v[8:9]
	v_add_f64 v[8:9], v[6:7], -v[10:11]
	v_add_f64 v[6:7], v[10:11], -v[6:7]
	;; [unrolled: 1-line block ×3, first 2 shown]
	v_fma_f64 v[52:53], v[28:29], s[0:1], v[26:27]
	v_add_f64 v[30:31], v[18:19], -v[14:15]
	v_fma_f64 v[48:49], v[4:5], s[2:3], v[20:21]
	v_add_f64 v[42:43], v[42:43], v[50:51]
	v_fma_f64 v[32:33], v[46:47], s[6:7], v[32:33]
	v_add_f64 v[2:3], v[2:3], v[10:11]
	v_add_f64 v[0:1], v[0:1], v[12:13]
	;; [unrolled: 1-line block ×3, first 2 shown]
	v_fma_f64 v[12:13], v[4:5], s[6:7], v[52:53]
	v_fma_f64 v[20:21], v[4:5], s[0:1], v[20:21]
	;; [unrolled: 1-line block ×3, first 2 shown]
	v_add_f64 v[8:9], v[8:9], v[30:31]
	v_fma_f64 v[10:11], v[28:29], s[6:7], v[48:49]
	v_fma_f64 v[30:31], v[46:47], s[8:9], v[40:41]
	;; [unrolled: 1-line block ×3, first 2 shown]
	v_add_f64 v[2:3], v[2:3], v[14:15]
	v_fma_f64 v[12:13], v[6:7], s[10:11], v[12:13]
	v_fma_f64 v[14:15], v[28:29], s[8:9], v[20:21]
	;; [unrolled: 1-line block ×3, first 2 shown]
	s_mov_b32 s16, 0x9b97f4a8
	v_fma_f64 v[10:11], v[8:9], s[10:11], v[10:11]
	v_fma_f64 v[26:27], v[42:43], s[10:11], v[30:31]
	s_mov_b32 s17, 0x3fe9e377
	v_add_f64 v[2:3], v[2:3], v[18:19]
	v_mul_f64 v[18:19], v[12:13], s[0:1]
	v_fma_f64 v[8:9], v[8:9], s[10:11], v[14:15]
	v_fma_f64 v[4:5], v[6:7], s[10:11], v[4:5]
	v_mul_f64 v[6:7], v[32:33], s[10:11]
	v_add_f64 v[0:1], v[0:1], v[16:17]
	v_mul_f64 v[16:17], v[22:23], s[16:17]
	v_mul_f64 v[28:29], v[24:25], s[16:17]
	;; [unrolled: 1-line block ×3, first 2 shown]
	v_fma_f64 v[30:31], v[26:27], s[10:11], v[18:19]
	v_mul_f64 v[18:19], v[26:27], s[2:3]
	v_mul_f64 v[26:27], v[4:5], s[10:11]
	v_fma_f64 v[4:5], v[4:5], s[0:1], -v[6:7]
	v_mul_f64 v[6:7], v[8:9], s[16:17]
	v_fma_f64 v[14:15], v[10:11], s[8:9], v[16:17]
	v_fma_f64 v[8:9], v[8:9], s[8:9], -v[28:29]
	v_fma_f64 v[10:11], v[10:11], s[16:17], v[22:23]
	v_add_f64 v[20:21], v[36:37], v[0:1]
	v_fma_f64 v[12:13], v[12:13], s[10:11], v[18:19]
	v_fma_f64 v[42:43], v[32:33], s[2:3], -v[26:27]
	v_add_f64 v[44:45], v[56:57], v[30:31]
	v_fma_f64 v[6:7], v[24:25], s[6:7], -v[6:7]
	v_add_f64 v[16:17], v[62:63], v[14:15]
	v_add_f64 v[48:49], v[58:59], v[4:5]
	v_add_f64 v[22:23], v[34:35], v[2:3]
	v_add_f64 v[24:25], v[36:37], -v[0:1]
	v_add_f64 v[26:27], v[34:35], -v[2:3]
	v_add_f64 v[52:53], v[64:65], v[8:9]
	v_add_f64 v[18:19], v[38:39], v[10:11]
	;; [unrolled: 1-line block ×5, first 2 shown]
	v_add_f64 v[36:37], v[62:63], -v[14:15]
	v_add_f64 v[28:29], v[56:57], -v[30:31]
	;; [unrolled: 1-line block ×8, first 2 shown]
	s_load_dwordx2 s[2:3], s[4:5], 0x8
	v_mul_lo_u16_e32 v92, 10, v85
	s_waitcnt lgkmcnt(0)
	s_barrier
	s_and_saveexec_b64 s[0:1], vcc
	s_cbranch_execz .LBB0_7
; %bb.6:
	v_add_lshl_u32 v0, v87, v92, 4
	ds_write_b128 v0, v[20:23]
	ds_write_b128 v0, v[16:19] offset:16
	ds_write_b128 v0, v[44:47] offset:32
	;; [unrolled: 1-line block ×9, first 2 shown]
.LBB0_7:
	s_or_b64 exec, exec, s[0:1]
	s_load_dwordx2 s[4:5], s[4:5], 0x20
	v_cmp_gt_u16_e64 s[0:1], 30, v85
	v_add_lshl_u32 v89, v87, v85, 4
	s_waitcnt lgkmcnt(0)
	s_barrier
	s_and_saveexec_b64 s[6:7], s[0:1]
	s_cbranch_execz .LBB0_9
; %bb.8:
	ds_read_b128 v[20:23], v89
	ds_read_b128 v[16:19], v89 offset:480
	ds_read_b128 v[44:47], v89 offset:960
	ds_read_b128 v[48:51], v89 offset:1440
	ds_read_b128 v[52:55], v89 offset:1920
	ds_read_b128 v[24:27], v89 offset:2400
.LBB0_9:
	s_or_b64 exec, exec, s[6:7]
	s_movk_i32 s6, 0xcd
	v_mul_lo_u16_sdwa v0, v85, s6 dst_sel:DWORD dst_unused:UNUSED_PAD src0_sel:BYTE_0 src1_sel:DWORD
	v_lshrrev_b16_e32 v73, 11, v0
	v_mul_lo_u16_e32 v0, 10, v73
	v_sub_u16_e32 v0, v85, v0
	v_and_b32_e32 v91, 0xff, v0
	v_mov_b32_e32 v0, s2
	s_movk_i32 s6, 0x50
	v_mov_b32_e32 v1, s3
	v_mad_u64_u32 v[56:57], s[6:7], v91, s6, v[0:1]
	global_load_dwordx4 v[0:3], v[56:57], off offset:48
	global_load_dwordx4 v[8:11], v[56:57], off offset:32
	;; [unrolled: 1-line block ×3, first 2 shown]
	global_load_dwordx4 v[12:15], v[56:57], off
	s_mov_b32 s8, 0xe8584caa
	s_mov_b32 s9, 0x3febb67a
	;; [unrolled: 1-line block ×4, first 2 shown]
	v_mul_lo_u16_e32 v93, 60, v73
	s_waitcnt vmcnt(0) lgkmcnt(4)
	v_mul_f64 v[58:59], v[18:19], v[14:15]
	v_fma_f64 v[62:63], v[16:17], v[12:13], -v[58:59]
	v_mul_f64 v[16:17], v[16:17], v[14:15]
	v_fma_f64 v[64:65], v[18:19], v[12:13], v[16:17]
	s_waitcnt lgkmcnt(3)
	v_mul_f64 v[16:17], v[46:47], v[6:7]
	v_fma_f64 v[58:59], v[44:45], v[4:5], -v[16:17]
	v_mul_f64 v[16:17], v[44:45], v[6:7]
	v_fma_f64 v[44:45], v[46:47], v[4:5], v[16:17]
	s_waitcnt lgkmcnt(2)
	;; [unrolled: 5-line block ×3, first 2 shown]
	v_mul_f64 v[16:17], v[54:55], v[2:3]
	v_fma_f64 v[50:51], v[52:53], v[0:1], -v[16:17]
	v_mul_f64 v[16:17], v[52:53], v[2:3]
	v_fma_f64 v[52:53], v[54:55], v[0:1], v[16:17]
	global_load_dwordx4 v[16:19], v[56:57], off offset:64
	s_waitcnt vmcnt(0) lgkmcnt(0)
	s_barrier
	v_add_f64 v[56:57], v[44:45], -v[52:53]
	v_mul_f64 v[54:55], v[26:27], v[18:19]
	v_fma_f64 v[54:55], v[24:25], v[16:17], -v[54:55]
	v_mul_f64 v[24:25], v[24:25], v[18:19]
	v_fma_f64 v[66:67], v[26:27], v[16:17], v[24:25]
	v_add_f64 v[26:27], v[58:59], v[50:51]
	v_add_f64 v[24:25], v[20:21], v[58:59]
	v_fma_f64 v[26:27], v[26:27], -0.5, v[20:21]
	v_add_f64 v[24:25], v[24:25], v[50:51]
	v_fma_f64 v[20:21], v[56:57], s[8:9], v[26:27]
	v_fma_f64 v[26:27], v[56:57], s[10:11], v[26:27]
	v_add_f64 v[56:57], v[22:23], v[44:45]
	v_add_f64 v[44:45], v[44:45], v[52:53]
	;; [unrolled: 1-line block ×3, first 2 shown]
	v_fma_f64 v[22:23], v[44:45], -0.5, v[22:23]
	v_add_f64 v[44:45], v[58:59], -v[50:51]
	v_add_f64 v[50:51], v[48:49], -v[66:67]
	v_fma_f64 v[58:59], v[44:45], s[10:11], v[22:23]
	v_fma_f64 v[60:61], v[44:45], s[8:9], v[22:23]
	v_add_f64 v[44:45], v[46:47], v[54:55]
	v_add_f64 v[22:23], v[62:63], v[46:47]
	v_add_f64 v[46:47], v[46:47], -v[54:55]
	v_fma_f64 v[44:45], v[44:45], -0.5, v[62:63]
	v_add_f64 v[22:23], v[22:23], v[54:55]
	v_fma_f64 v[52:53], v[50:51], s[8:9], v[44:45]
	v_fma_f64 v[44:45], v[50:51], s[10:11], v[44:45]
	v_add_f64 v[50:51], v[64:65], v[48:49]
	v_add_f64 v[48:49], v[48:49], v[66:67]
	;; [unrolled: 1-line block ×3, first 2 shown]
	v_fma_f64 v[48:49], v[48:49], -0.5, v[64:65]
	v_fma_f64 v[50:51], v[46:47], s[10:11], v[48:49]
	v_fma_f64 v[46:47], v[46:47], s[8:9], v[48:49]
	v_mul_f64 v[48:49], v[50:51], s[8:9]
	v_fma_f64 v[64:65], v[52:53], 0.5, v[48:49]
	v_mul_f64 v[48:49], v[44:45], -0.5
	v_fma_f64 v[66:67], v[46:47], s[8:9], v[48:49]
	v_mul_f64 v[48:49], v[52:53], s[10:11]
	v_mul_f64 v[46:47], v[46:47], -0.5
	v_add_f64 v[52:53], v[20:21], -v[64:65]
	v_fma_f64 v[69:70], v[50:51], 0.5, v[48:49]
	v_fma_f64 v[71:72], v[44:45], s[10:11], v[46:47]
	v_add_f64 v[44:45], v[24:25], -v[22:23]
	v_add_f64 v[48:49], v[26:27], -v[66:67]
	;; [unrolled: 1-line block ×5, first 2 shown]
	s_and_saveexec_b64 s[6:7], s[0:1]
	s_cbranch_execz .LBB0_11
; %bb.10:
	v_add_f64 v[75:76], v[56:57], v[62:63]
	v_add_f64 v[73:74], v[24:25], v[22:23]
	;; [unrolled: 1-line block ×6, first 2 shown]
	v_and_b32_e32 v20, 0xfc, v93
	v_add_u32_e32 v20, v20, v91
	v_add_lshl_u32 v20, v87, v20, 4
	ds_write_b128 v20, v[73:76]
	ds_write_b128 v20, v[69:72] offset:160
	ds_write_b128 v20, v[58:61] offset:320
	;; [unrolled: 1-line block ×5, first 2 shown]
.LBB0_11:
	s_or_b64 exec, exec, s[6:7]
	v_lshlrev_b32_e32 v56, 5, v85
	s_load_dwordx4 s[4:7], s[4:5], 0x0
	s_waitcnt lgkmcnt(0)
	s_barrier
	global_load_dwordx4 v[24:27], v56, s[2:3] offset:800
	global_load_dwordx4 v[20:23], v56, s[2:3] offset:816
	ds_read_b128 v[56:59], v89 offset:960
	ds_read_b128 v[60:63], v89 offset:1920
	v_lshl_add_u32 v90, v85, 4, v88
	s_waitcnt vmcnt(1) lgkmcnt(1)
	v_mul_f64 v[64:65], v[58:59], v[26:27]
	s_waitcnt vmcnt(0) lgkmcnt(0)
	v_mul_f64 v[66:67], v[62:63], v[22:23]
	v_mul_f64 v[69:70], v[56:57], v[26:27]
	;; [unrolled: 1-line block ×3, first 2 shown]
	v_fma_f64 v[64:65], v[56:57], v[24:25], -v[64:65]
	v_fma_f64 v[60:61], v[60:61], v[20:21], -v[66:67]
	v_fma_f64 v[66:67], v[58:59], v[24:25], v[69:70]
	v_fma_f64 v[62:63], v[62:63], v[20:21], v[71:72]
	ds_read_b128 v[56:59], v89
	v_add_f64 v[69:70], v[64:65], v[60:61]
	s_waitcnt lgkmcnt(0)
	v_add_f64 v[73:74], v[56:57], v[64:65]
	v_add_f64 v[71:72], v[66:67], v[62:63]
	v_add_f64 v[75:76], v[66:67], -v[62:63]
	v_add_f64 v[66:67], v[58:59], v[66:67]
	v_add_f64 v[77:78], v[64:65], -v[60:61]
	v_fma_f64 v[69:70], v[69:70], -0.5, v[56:57]
	v_add_f64 v[60:61], v[73:74], v[60:61]
	v_fma_f64 v[71:72], v[71:72], -0.5, v[58:59]
	v_add_f64 v[62:63], v[66:67], v[62:63]
	v_fma_f64 v[56:57], v[75:76], s[8:9], v[69:70]
	v_fma_f64 v[64:65], v[75:76], s[10:11], v[69:70]
	;; [unrolled: 1-line block ×4, first 2 shown]
	ds_write_b128 v90, v[60:63]
	ds_write_b128 v90, v[56:59] offset:960
	ds_write_b128 v90, v[64:67] offset:1920
	s_waitcnt lgkmcnt(0)
	s_barrier
	s_and_saveexec_b64 s[2:3], vcc
	s_cbranch_execz .LBB0_13
; %bb.12:
	global_load_dwordx4 v[73:76], v86, s[14:15] offset:2880
	ds_read_b128 v[69:72], v90
	s_add_u32 s8, s14, 0xb40
	s_addc_u32 s9, s15, 0
	s_waitcnt vmcnt(0) lgkmcnt(0)
	v_mul_f64 v[77:78], v[71:72], v[75:76]
	v_fma_f64 v[77:78], v[69:70], v[73:74], -v[77:78]
	v_mul_f64 v[69:70], v[69:70], v[75:76]
	v_fma_f64 v[79:80], v[71:72], v[73:74], v[69:70]
	global_load_dwordx4 v[73:76], v86, s[8:9] offset:288
	ds_read_b128 v[69:72], v90 offset:288
	ds_write_b128 v90, v[77:80]
	s_waitcnt vmcnt(0) lgkmcnt(1)
	v_mul_f64 v[77:78], v[71:72], v[75:76]
	v_fma_f64 v[77:78], v[69:70], v[73:74], -v[77:78]
	v_mul_f64 v[69:70], v[69:70], v[75:76]
	v_fma_f64 v[79:80], v[71:72], v[73:74], v[69:70]
	global_load_dwordx4 v[73:76], v86, s[8:9] offset:576
	ds_read_b128 v[69:72], v90 offset:576
	ds_write_b128 v90, v[77:80] offset:288
	s_waitcnt vmcnt(0) lgkmcnt(1)
	v_mul_f64 v[77:78], v[71:72], v[75:76]
	v_fma_f64 v[77:78], v[69:70], v[73:74], -v[77:78]
	v_mul_f64 v[69:70], v[69:70], v[75:76]
	v_fma_f64 v[79:80], v[71:72], v[73:74], v[69:70]
	global_load_dwordx4 v[73:76], v86, s[8:9] offset:864
	ds_read_b128 v[69:72], v90 offset:864
	ds_write_b128 v90, v[77:80] offset:576
	;; [unrolled: 8-line block ×8, first 2 shown]
	s_waitcnt vmcnt(0) lgkmcnt(1)
	v_mul_f64 v[77:78], v[71:72], v[75:76]
	v_fma_f64 v[77:78], v[69:70], v[73:74], -v[77:78]
	v_mul_f64 v[69:70], v[69:70], v[75:76]
	v_fma_f64 v[79:80], v[71:72], v[73:74], v[69:70]
	ds_write_b128 v90, v[77:80] offset:2592
.LBB0_13:
	s_or_b64 exec, exec, s[2:3]
	s_waitcnt lgkmcnt(0)
	s_barrier
	s_and_saveexec_b64 s[2:3], vcc
	s_cbranch_execz .LBB0_15
; %bb.14:
	ds_read_b128 v[60:63], v90
	ds_read_b128 v[56:59], v90 offset:288
	ds_read_b128 v[64:67], v90 offset:576
	;; [unrolled: 1-line block ×9, first 2 shown]
.LBB0_15:
	s_or_b64 exec, exec, s[2:3]
	s_waitcnt lgkmcnt(7)
	v_add_f64 v[69:70], v[60:61], v[64:65]
	s_waitcnt lgkmcnt(3)
	v_add_f64 v[71:72], v[52:53], v[36:37]
	s_waitcnt lgkmcnt(1)
	v_add_f64 v[73:74], v[66:67], -v[42:43]
	v_add_f64 v[77:78], v[64:65], v[40:41]
	s_mov_b32 s2, 0x134454ff
	s_mov_b32 s3, 0xbfee6f0e
	;; [unrolled: 1-line block ×4, first 2 shown]
	v_add_f64 v[69:70], v[69:70], v[52:53]
	v_fma_f64 v[71:72], v[71:72], -0.5, v[60:61]
	v_add_f64 v[75:76], v[54:55], -v[38:39]
	v_add_f64 v[79:80], v[64:65], -v[52:53]
	;; [unrolled: 1-line block ×3, first 2 shown]
	v_fma_f64 v[77:78], v[77:78], -0.5, v[60:61]
	v_add_f64 v[60:61], v[54:55], v[38:39]
	s_mov_b32 s8, 0x4755a5e
	v_add_f64 v[69:70], v[69:70], v[36:37]
	v_fma_f64 v[83:84], v[73:74], s[2:3], v[71:72]
	v_fma_f64 v[71:72], v[73:74], s[10:11], v[71:72]
	s_mov_b32 s9, 0xbfe2cf23
	s_mov_b32 s17, 0x3fe2cf23
	;; [unrolled: 1-line block ×3, first 2 shown]
	v_add_f64 v[79:80], v[79:80], v[81:82]
	v_fma_f64 v[81:82], v[75:76], s[10:11], v[77:78]
	v_add_f64 v[94:95], v[69:70], v[40:41]
	v_fma_f64 v[69:70], v[75:76], s[8:9], v[83:84]
	v_fma_f64 v[71:72], v[75:76], s[16:17], v[71:72]
	v_add_f64 v[83:84], v[52:53], -v[64:65]
	v_add_f64 v[96:97], v[36:37], -v[40:41]
	v_add_f64 v[98:99], v[62:63], v[66:67]
	v_fma_f64 v[100:101], v[60:61], -0.5, v[62:63]
	v_add_f64 v[40:41], v[64:65], -v[40:41]
	s_mov_b32 s18, 0x372fe950
	s_mov_b32 s19, 0x3fd3c6ef
	v_fma_f64 v[60:61], v[79:80], s[18:19], v[69:70]
	v_fma_f64 v[64:65], v[79:80], s[18:19], v[71:72]
	;; [unrolled: 1-line block ×3, first 2 shown]
	v_add_f64 v[71:72], v[83:84], v[96:97]
	v_fma_f64 v[75:76], v[75:76], s[2:3], v[77:78]
	v_add_f64 v[77:78], v[98:99], v[54:55]
	v_fma_f64 v[79:80], v[40:41], s[10:11], v[100:101]
	v_add_f64 v[36:37], v[52:53], -v[36:37]
	v_add_f64 v[81:82], v[66:67], -v[54:55]
	;; [unrolled: 1-line block ×3, first 2 shown]
	v_add_f64 v[98:99], v[66:67], v[42:43]
	v_fma_f64 v[96:97], v[40:41], s[2:3], v[100:101]
	v_fma_f64 v[73:74], v[73:74], s[16:17], v[75:76]
	v_add_f64 v[75:76], v[77:78], v[38:39]
	v_fma_f64 v[52:53], v[71:72], s[18:19], v[69:70]
	v_add_f64 v[69:70], v[48:49], v[28:29]
	;; [unrolled: 2-line block ×3, first 2 shown]
	v_fma_f64 v[83:84], v[98:99], -0.5, v[62:63]
	v_fma_f64 v[81:82], v[36:37], s[8:9], v[96:97]
	v_fma_f64 v[62:63], v[71:72], s[18:19], v[73:74]
	v_add_f64 v[96:97], v[75:76], v[42:43]
	v_add_f64 v[73:74], v[56:57], v[44:45]
	v_fma_f64 v[75:76], v[69:70], -0.5, v[56:57]
	s_waitcnt lgkmcnt(0)
	v_add_f64 v[98:99], v[46:47], -v[34:35]
	v_fma_f64 v[69:70], v[79:80], s[18:19], v[77:78]
	v_fma_f64 v[77:78], v[36:37], s[2:3], v[83:84]
	v_add_f64 v[54:55], v[54:55], -v[66:67]
	v_add_f64 v[38:39], v[38:39], -v[42:43]
	v_fma_f64 v[36:37], v[36:37], s[10:11], v[83:84]
	v_fma_f64 v[71:72], v[79:80], s[18:19], v[81:82]
	v_add_f64 v[42:43], v[73:74], v[48:49]
	v_fma_f64 v[66:67], v[98:99], s[2:3], v[75:76]
	v_add_f64 v[73:74], v[50:51], -v[30:31]
	v_add_f64 v[79:80], v[44:45], -v[48:49]
	;; [unrolled: 1-line block ×3, first 2 shown]
	v_add_f64 v[83:84], v[44:45], v[32:33]
	v_add_f64 v[100:101], v[50:51], v[30:31]
	;; [unrolled: 1-line block ×3, first 2 shown]
	v_fma_f64 v[36:37], v[40:41], s[8:9], v[36:37]
	v_fma_f64 v[77:78], v[40:41], s[16:17], v[77:78]
	v_add_f64 v[40:41], v[42:43], v[28:29]
	v_fma_f64 v[42:43], v[73:74], s[8:9], v[66:67]
	v_add_f64 v[66:67], v[79:80], v[81:82]
	v_fma_f64 v[79:80], v[83:84], -0.5, v[56:57]
	v_fma_f64 v[75:76], v[98:99], s[10:11], v[75:76]
	v_fma_f64 v[81:82], v[100:101], -0.5, v[58:59]
	v_add_f64 v[83:84], v[44:45], -v[32:33]
	v_fma_f64 v[56:57], v[38:39], s[18:19], v[36:37]
	v_add_f64 v[36:37], v[46:47], v[34:35]
	v_fma_f64 v[54:55], v[38:39], s[18:19], v[77:78]
	v_add_f64 v[100:101], v[40:41], v[32:33]
	v_fma_f64 v[40:41], v[66:67], s[18:19], v[42:43]
	v_fma_f64 v[42:43], v[73:74], s[16:17], v[75:76]
	v_add_f64 v[77:78], v[48:49], -v[28:29]
	v_fma_f64 v[75:76], v[83:84], s[10:11], v[81:82]
	v_add_f64 v[102:103], v[46:47], -v[50:51]
	v_add_f64 v[104:105], v[34:35], -v[30:31]
	v_fma_f64 v[36:37], v[36:37], -0.5, v[58:59]
	v_add_f64 v[28:29], v[28:29], -v[32:33]
	v_add_f64 v[32:33], v[58:59], v[46:47]
	v_fma_f64 v[38:39], v[73:74], s[10:11], v[79:80]
	v_add_f64 v[44:45], v[48:49], -v[44:45]
	v_fma_f64 v[48:49], v[73:74], s[2:3], v[79:80]
	v_fma_f64 v[58:59], v[77:78], s[16:17], v[75:76]
	v_add_f64 v[73:74], v[102:103], v[104:105]
	v_fma_f64 v[75:76], v[77:78], s[2:3], v[36:37]
	v_add_f64 v[46:47], v[50:51], -v[46:47]
	v_add_f64 v[79:80], v[30:31], -v[34:35]
	v_fma_f64 v[36:37], v[77:78], s[10:11], v[36:37]
	v_add_f64 v[32:33], v[32:33], v[50:51]
	v_fma_f64 v[50:51], v[83:84], s[2:3], v[81:82]
	v_add_f64 v[28:29], v[44:45], v[28:29]
	v_fma_f64 v[44:45], v[98:99], s[16:17], v[48:49]
	v_fma_f64 v[48:49], v[73:74], s[18:19], v[58:59]
	;; [unrolled: 1-line block ×3, first 2 shown]
	v_add_f64 v[46:47], v[46:47], v[79:80]
	v_fma_f64 v[36:37], v[83:84], s[8:9], v[36:37]
	v_add_f64 v[30:31], v[32:33], v[30:31]
	v_fma_f64 v[32:33], v[77:78], s[8:9], v[50:51]
	v_fma_f64 v[38:39], v[98:99], s[8:9], v[38:39]
	;; [unrolled: 1-line block ×3, first 2 shown]
	v_mul_f64 v[50:51], v[48:49], s[8:9]
	s_mov_b32 s20, 0x9b97f4a8
	v_fma_f64 v[66:67], v[46:47], s[18:19], v[58:59]
	v_fma_f64 v[36:37], v[46:47], s[18:19], v[36:37]
	v_add_f64 v[98:99], v[30:31], v[34:35]
	v_fma_f64 v[30:31], v[73:74], s[18:19], v[32:33]
	s_mov_b32 s21, 0x3fe9e377
	v_fma_f64 v[38:39], v[28:29], s[18:19], v[38:39]
	v_fma_f64 v[44:45], v[28:29], s[18:19], v[44:45]
	;; [unrolled: 1-line block ×3, first 2 shown]
	v_mul_f64 v[32:33], v[66:67], s[2:3]
	v_mul_f64 v[34:35], v[36:37], s[2:3]
	s_mov_b32 s3, 0xbfd3c6ef
	s_mov_b32 s2, s18
	v_mul_f64 v[46:47], v[30:31], s[8:9]
	s_mov_b32 s9, 0xbfe9e377
	s_mov_b32 s8, s20
	v_mul_f64 v[40:41], v[40:41], s[16:17]
	v_mul_f64 v[50:51], v[66:67], s[18:19]
	;; [unrolled: 1-line block ×4, first 2 shown]
	v_fma_f64 v[66:67], v[38:39], s[18:19], v[32:33]
	v_fma_f64 v[73:74], v[44:45], s[2:3], v[34:35]
	;; [unrolled: 1-line block ×3, first 2 shown]
	v_add_f64 v[28:29], v[94:95], v[100:101]
	v_fma_f64 v[77:78], v[48:49], s[20:21], v[40:41]
	v_fma_f64 v[79:80], v[38:39], s[10:11], v[50:51]
	;; [unrolled: 1-line block ×4, first 2 shown]
	v_add_f64 v[32:33], v[60:61], v[58:59]
	v_add_f64 v[36:37], v[52:53], v[66:67]
	;; [unrolled: 1-line block ×9, first 2 shown]
	v_add_f64 v[48:49], v[94:95], -v[100:101]
	v_add_f64 v[50:51], v[96:97], -v[98:99]
	s_barrier
	s_and_saveexec_b64 s[2:3], vcc
	s_cbranch_execz .LBB0_17
; %bb.16:
	v_add_f64 v[71:72], v[71:72], -v[83:84]
	v_add_f64 v[56:57], v[56:57], -v[81:82]
	;; [unrolled: 1-line block ×6, first 2 shown]
	v_lshl_add_u32 v52, v92, 4, v88
	v_add_f64 v[69:70], v[64:65], -v[75:76]
	v_add_f64 v[54:55], v[62:63], -v[73:74]
	ds_write_b128 v52, v[28:31]
	ds_write_b128 v52, v[32:35] offset:16
	ds_write_b128 v52, v[36:39] offset:32
	;; [unrolled: 1-line block ×9, first 2 shown]
.LBB0_17:
	s_or_b64 exec, exec, s[2:3]
	s_waitcnt lgkmcnt(0)
	s_barrier
	s_and_saveexec_b64 s[2:3], s[0:1]
	s_cbranch_execz .LBB0_19
; %bb.18:
	ds_read_b128 v[28:31], v89
	ds_read_b128 v[32:35], v89 offset:480
	ds_read_b128 v[36:39], v89 offset:960
	;; [unrolled: 1-line block ×5, first 2 shown]
.LBB0_19:
	s_or_b64 exec, exec, s[2:3]
	s_waitcnt lgkmcnt(0)
	s_barrier
	s_and_saveexec_b64 s[2:3], s[0:1]
	s_cbranch_execz .LBB0_21
; %bb.20:
	v_mul_f64 v[52:53], v[10:11], v[40:41]
	v_mul_f64 v[54:55], v[18:19], v[48:49]
	;; [unrolled: 1-line block ×8, first 2 shown]
	v_fma_f64 v[42:43], v[8:9], v[42:43], -v[52:53]
	v_fma_f64 v[50:51], v[16:17], v[50:51], -v[54:55]
	v_mul_f64 v[52:53], v[2:3], v[44:45]
	v_mul_f64 v[2:3], v[2:3], v[46:47]
	v_fma_f64 v[8:9], v[8:9], v[40:41], v[10:11]
	v_fma_f64 v[10:11], v[16:17], v[48:49], v[18:19]
	v_fma_f64 v[16:17], v[12:13], v[34:35], -v[58:59]
	v_fma_f64 v[34:35], v[4:5], v[38:39], -v[56:57]
	v_fma_f64 v[4:5], v[4:5], v[36:37], v[6:7]
	v_add_f64 v[18:19], v[42:43], v[50:51]
	v_fma_f64 v[38:39], v[0:1], v[46:47], -v[52:53]
	v_fma_f64 v[0:1], v[0:1], v[44:45], v[2:3]
	v_fma_f64 v[2:3], v[12:13], v[32:33], v[14:15]
	v_add_f64 v[6:7], v[8:9], v[10:11]
	v_add_f64 v[12:13], v[8:9], -v[10:11]
	s_mov_b32 s0, 0xe8584caa
	s_mov_b32 s1, 0xbfebb67a
	v_fma_f64 v[14:15], v[18:19], -0.5, v[16:17]
	s_mov_b32 s9, 0x3febb67a
	s_mov_b32 s8, s0
	v_add_f64 v[18:19], v[34:35], v[38:39]
	v_add_f64 v[36:37], v[42:43], -v[50:51]
	v_fma_f64 v[6:7], v[6:7], -0.5, v[2:3]
	v_add_f64 v[16:17], v[16:17], v[42:43]
	v_add_f64 v[42:43], v[4:5], v[0:1]
	v_fma_f64 v[40:41], v[12:13], s[0:1], v[14:15]
	v_fma_f64 v[12:13], v[12:13], s[8:9], v[14:15]
	v_add_f64 v[32:33], v[4:5], -v[0:1]
	v_add_f64 v[44:45], v[30:31], v[34:35]
	v_fma_f64 v[14:15], v[18:19], -0.5, v[30:31]
	v_fma_f64 v[18:19], v[36:37], s[8:9], v[6:7]
	v_add_f64 v[4:5], v[28:29], v[4:5]
	v_add_f64 v[8:9], v[2:3], v[8:9]
	v_mul_f64 v[30:31], v[40:41], -0.5
	v_add_f64 v[34:35], v[34:35], -v[38:39]
	v_fma_f64 v[28:29], v[42:43], -0.5, v[28:29]
	v_fma_f64 v[6:7], v[36:37], s[0:1], v[6:7]
	v_mul_f64 v[2:3], v[12:13], 0.5
	v_mul_f64 v[12:13], v[12:13], s[0:1]
	v_mul_f64 v[40:41], v[40:41], s[0:1]
	v_fma_f64 v[36:37], v[32:33], s[0:1], v[14:15]
	v_fma_f64 v[30:31], v[18:19], s[8:9], v[30:31]
	v_add_f64 v[38:39], v[44:45], v[38:39]
	v_add_f64 v[16:17], v[16:17], v[50:51]
	;; [unrolled: 1-line block ×4, first 2 shown]
	v_fma_f64 v[32:33], v[32:33], s[8:9], v[14:15]
	v_fma_f64 v[42:43], v[6:7], s[8:9], v[2:3]
	v_fma_f64 v[44:45], v[34:35], s[8:9], v[28:29]
	v_fma_f64 v[34:35], v[34:35], s[0:1], v[28:29]
	v_fma_f64 v[46:47], v[6:7], 0.5, v[12:13]
	v_fma_f64 v[40:41], v[18:19], -0.5, v[40:41]
	v_add_f64 v[2:3], v[36:37], -v[30:31]
	v_add_f64 v[14:15], v[36:37], v[30:31]
	v_add_f64 v[30:31], v[38:39], v[16:17]
	;; [unrolled: 1-line block ×3, first 2 shown]
	v_add_f64 v[10:11], v[38:39], -v[16:17]
	v_add_f64 v[18:19], v[32:33], v[42:43]
	v_add_f64 v[16:17], v[34:35], v[46:47]
	;; [unrolled: 1-line block ×3, first 2 shown]
	v_add_f64 v[8:9], v[4:5], -v[8:9]
	v_add_f64 v[6:7], v[32:33], -v[42:43]
	;; [unrolled: 1-line block ×4, first 2 shown]
	v_and_b32_e32 v32, 0xfc, v93
	v_add_u32_e32 v32, v32, v91
	v_lshl_add_u32 v32, v32, 4, v88
	ds_write_b128 v32, v[28:31]
	ds_write_b128 v32, v[16:19] offset:160
	ds_write_b128 v32, v[12:15] offset:320
	;; [unrolled: 1-line block ×5, first 2 shown]
.LBB0_21:
	s_or_b64 exec, exec, s[2:3]
	s_waitcnt lgkmcnt(0)
	s_barrier
	ds_read_b128 v[0:3], v89 offset:960
	ds_read_b128 v[4:7], v89 offset:1920
	s_mov_b32 s0, 0xe8584caa
	s_mov_b32 s1, 0xbfebb67a
	;; [unrolled: 1-line block ×3, first 2 shown]
	s_waitcnt lgkmcnt(1)
	v_mul_f64 v[8:9], v[26:27], v[2:3]
	v_mul_f64 v[10:11], v[26:27], v[0:1]
	s_waitcnt lgkmcnt(0)
	v_mul_f64 v[12:13], v[22:23], v[6:7]
	v_mul_f64 v[14:15], v[22:23], v[4:5]
	s_mov_b32 s2, s0
	v_fma_f64 v[8:9], v[24:25], v[0:1], v[8:9]
	v_fma_f64 v[10:11], v[24:25], v[2:3], -v[10:11]
	v_fma_f64 v[4:5], v[20:21], v[4:5], v[12:13]
	v_fma_f64 v[6:7], v[20:21], v[6:7], -v[14:15]
	ds_read_b128 v[0:3], v89
	s_waitcnt lgkmcnt(0)
	v_add_f64 v[16:17], v[0:1], v[8:9]
	v_add_f64 v[12:13], v[8:9], v[4:5]
	;; [unrolled: 1-line block ×3, first 2 shown]
	v_add_f64 v[18:19], v[10:11], -v[6:7]
	v_add_f64 v[10:11], v[2:3], v[10:11]
	v_add_f64 v[20:21], v[8:9], -v[4:5]
	v_fma_f64 v[8:9], v[12:13], -0.5, v[0:1]
	v_fma_f64 v[12:13], v[14:15], -0.5, v[2:3]
	v_add_f64 v[0:1], v[16:17], v[4:5]
	v_add_f64 v[2:3], v[10:11], v[6:7]
	v_fma_f64 v[4:5], v[18:19], s[0:1], v[8:9]
	v_fma_f64 v[6:7], v[20:21], s[2:3], v[12:13]
	;; [unrolled: 1-line block ×4, first 2 shown]
	ds_write_b128 v90, v[0:3]
	ds_write_b128 v90, v[4:7] offset:960
	ds_write_b128 v90, v[8:11] offset:1920
	s_waitcnt lgkmcnt(0)
	s_barrier
	s_and_b64 exec, exec, vcc
	s_cbranch_execz .LBB0_23
; %bb.22:
	global_load_dwordx4 v[0:3], v86, s[14:15]
	global_load_dwordx4 v[4:7], v86, s[14:15] offset:288
	global_load_dwordx4 v[8:11], v86, s[14:15] offset:576
	;; [unrolled: 1-line block ×9, first 2 shown]
	v_mad_u64_u32 v[73:74], s[0:1], s6, v68, 0
	v_mad_u64_u32 v[75:76], s[2:3], s4, v85, 0
	s_mul_i32 s3, s5, 0x120
	s_mul_hi_u32 s6, s4, 0x120
	s_add_i32 s3, s6, s3
	v_mad_u64_u32 v[77:78], s[6:7], s7, v68, v[74:75]
	s_mul_i32 s2, s4, 0x120
	v_mov_b32_e32 v80, s13
	v_mad_u64_u32 v[78:79], s[4:5], s5, v85, v[76:77]
	v_mov_b32_e32 v74, v77
	v_lshlrev_b64 v[73:74], 4, v[73:74]
	v_mov_b32_e32 v76, v78
	v_lshlrev_b64 v[75:76], 4, v[75:76]
	v_add_co_u32_e32 v73, vcc, s12, v73
	v_addc_co_u32_e32 v74, vcc, v80, v74, vcc
	v_add_co_u32_e32 v73, vcc, v73, v75
	v_lshl_add_u32 v95, v87, 4, v86
	ds_read_b128 v[40:43], v90
	ds_read_b128 v[44:47], v95 offset:288
	v_addc_co_u32_e32 v74, vcc, v74, v76, vcc
	v_mov_b32_e32 v81, s3
	v_add_co_u32_e32 v75, vcc, s2, v73
	v_addc_co_u32_e32 v76, vcc, v74, v81, vcc
	v_mov_b32_e32 v82, s3
	v_add_co_u32_e32 v77, vcc, s2, v75
	v_addc_co_u32_e32 v78, vcc, v76, v82, vcc
	ds_read_b128 v[48:51], v95 offset:576
	ds_read_b128 v[52:55], v95 offset:864
	;; [unrolled: 1-line block ×6, first 2 shown]
	s_mov_b32 s0, 0x16c16c17
	s_mov_b32 s1, 0x3f76c16c
	v_mov_b32_e32 v68, s3
	v_add_co_u32_e32 v79, vcc, s2, v77
	v_addc_co_u32_e32 v80, vcc, v78, v68, vcc
	v_mov_b32_e32 v96, s3
	s_waitcnt vmcnt(9) lgkmcnt(7)
	v_mul_f64 v[81:82], v[42:43], v[2:3]
	v_mul_f64 v[2:3], v[40:41], v[2:3]
	s_waitcnt vmcnt(8) lgkmcnt(6)
	v_mul_f64 v[83:84], v[46:47], v[6:7]
	v_mul_f64 v[6:7], v[44:45], v[6:7]
	s_waitcnt vmcnt(7) lgkmcnt(5)
	v_mul_f64 v[85:86], v[50:51], v[10:11]
	v_mul_f64 v[10:11], v[48:49], v[10:11]
	s_waitcnt vmcnt(6) lgkmcnt(4)
	v_mul_f64 v[87:88], v[54:55], v[14:15]
	v_mul_f64 v[14:15], v[52:53], v[14:15]
	s_waitcnt vmcnt(5) lgkmcnt(3)
	v_mul_f64 v[89:90], v[58:59], v[18:19]
	v_mul_f64 v[18:19], v[56:57], v[18:19]
	s_waitcnt vmcnt(4) lgkmcnt(2)
	v_mul_f64 v[91:92], v[62:63], v[22:23]
	v_mul_f64 v[22:23], v[60:61], v[22:23]
	v_fma_f64 v[40:41], v[40:41], v[0:1], v[81:82]
	v_fma_f64 v[2:3], v[0:1], v[42:43], -v[2:3]
	v_fma_f64 v[42:43], v[44:45], v[4:5], v[83:84]
	v_fma_f64 v[6:7], v[4:5], v[46:47], -v[6:7]
	;; [unrolled: 2-line block ×5, first 2 shown]
	v_mul_f64 v[0:1], v[40:41], s[0:1]
	v_mul_f64 v[2:3], v[2:3], s[0:1]
	v_fma_f64 v[40:41], v[60:61], v[20:21], v[91:92]
	v_fma_f64 v[20:21], v[20:21], v[62:63], -v[22:23]
	s_waitcnt vmcnt(3) lgkmcnt(1)
	v_mul_f64 v[93:94], v[66:67], v[26:27]
	v_mul_f64 v[26:27], v[64:65], v[26:27]
	;; [unrolled: 1-line block ×10, first 2 shown]
	global_store_dwordx4 v[73:74], v[0:3], off
	global_store_dwordx4 v[75:76], v[4:7], off
	;; [unrolled: 1-line block ×4, first 2 shown]
	v_mul_f64 v[0:1], v[40:41], s[0:1]
	v_mul_f64 v[2:3], v[20:21], s[0:1]
	v_fma_f64 v[6:7], v[64:65], v[24:25], v[93:94]
	v_fma_f64 v[8:9], v[24:25], v[66:67], -v[26:27]
	s_waitcnt vmcnt(6) lgkmcnt(0)
	v_mul_f64 v[10:11], v[71:72], v[30:31]
	v_add_co_u32_e32 v4, vcc, s2, v79
	v_addc_co_u32_e32 v5, vcc, v80, v96, vcc
	v_mul_f64 v[12:13], v[69:70], v[30:31]
	v_mov_b32_e32 v15, s3
	v_add_co_u32_e32 v14, vcc, s2, v4
	v_addc_co_u32_e32 v15, vcc, v5, v15, vcc
	global_store_dwordx4 v[4:5], v[16:19], off
	global_store_dwordx4 v[14:15], v[0:3], off
	v_fma_f64 v[16:17], v[69:70], v[28:29], v[10:11]
	v_mul_f64 v[0:1], v[6:7], s[0:1]
	v_mul_f64 v[2:3], v[8:9], s[0:1]
	ds_read_b128 v[4:7], v95 offset:2304
	ds_read_b128 v[8:11], v95 offset:2592
	v_mov_b32_e32 v18, s3
	v_add_co_u32_e32 v14, vcc, s2, v14
	v_fma_f64 v[12:13], v[28:29], v[71:72], -v[12:13]
	v_addc_co_u32_e32 v15, vcc, v15, v18, vcc
	s_waitcnt vmcnt(7) lgkmcnt(1)
	v_mul_f64 v[18:19], v[6:7], v[34:35]
	v_mul_f64 v[20:21], v[4:5], v[34:35]
	s_waitcnt vmcnt(6) lgkmcnt(0)
	v_mul_f64 v[22:23], v[10:11], v[38:39]
	v_mul_f64 v[24:25], v[8:9], v[38:39]
	global_store_dwordx4 v[14:15], v[0:3], off
	v_fma_f64 v[4:5], v[4:5], v[32:33], v[18:19]
	v_mul_f64 v[0:1], v[16:17], s[0:1]
	v_mul_f64 v[2:3], v[12:13], s[0:1]
	v_fma_f64 v[6:7], v[32:33], v[6:7], -v[20:21]
	v_fma_f64 v[8:9], v[8:9], v[36:37], v[22:23]
	v_fma_f64 v[10:11], v[36:37], v[10:11], -v[24:25]
	v_mov_b32_e32 v13, s3
	v_add_co_u32_e32 v12, vcc, s2, v14
	v_addc_co_u32_e32 v13, vcc, v15, v13, vcc
	global_store_dwordx4 v[12:13], v[0:3], off
	v_mov_b32_e32 v14, s3
	v_mul_f64 v[0:1], v[4:5], s[0:1]
	v_mul_f64 v[2:3], v[6:7], s[0:1]
	;; [unrolled: 1-line block ×4, first 2 shown]
	v_add_co_u32_e32 v8, vcc, s2, v12
	v_addc_co_u32_e32 v9, vcc, v13, v14, vcc
	global_store_dwordx4 v[8:9], v[0:3], off
	s_nop 0
	v_mov_b32_e32 v1, s3
	v_add_co_u32_e32 v0, vcc, s2, v8
	v_addc_co_u32_e32 v1, vcc, v9, v1, vcc
	global_store_dwordx4 v[0:1], v[4:7], off
.LBB0_23:
	s_endpgm
	.section	.rodata,"a",@progbits
	.p2align	6, 0x0
	.amdhsa_kernel bluestein_single_back_len180_dim1_dp_op_CI_CI
		.amdhsa_group_segment_fixed_size 11520
		.amdhsa_private_segment_fixed_size 0
		.amdhsa_kernarg_size 104
		.amdhsa_user_sgpr_count 6
		.amdhsa_user_sgpr_private_segment_buffer 1
		.amdhsa_user_sgpr_dispatch_ptr 0
		.amdhsa_user_sgpr_queue_ptr 0
		.amdhsa_user_sgpr_kernarg_segment_ptr 1
		.amdhsa_user_sgpr_dispatch_id 0
		.amdhsa_user_sgpr_flat_scratch_init 0
		.amdhsa_user_sgpr_private_segment_size 0
		.amdhsa_uses_dynamic_stack 0
		.amdhsa_system_sgpr_private_segment_wavefront_offset 0
		.amdhsa_system_sgpr_workgroup_id_x 1
		.amdhsa_system_sgpr_workgroup_id_y 0
		.amdhsa_system_sgpr_workgroup_id_z 0
		.amdhsa_system_sgpr_workgroup_info 0
		.amdhsa_system_vgpr_workitem_id 0
		.amdhsa_next_free_vgpr 106
		.amdhsa_next_free_sgpr 22
		.amdhsa_reserve_vcc 1
		.amdhsa_reserve_flat_scratch 0
		.amdhsa_float_round_mode_32 0
		.amdhsa_float_round_mode_16_64 0
		.amdhsa_float_denorm_mode_32 3
		.amdhsa_float_denorm_mode_16_64 3
		.amdhsa_dx10_clamp 1
		.amdhsa_ieee_mode 1
		.amdhsa_fp16_overflow 0
		.amdhsa_exception_fp_ieee_invalid_op 0
		.amdhsa_exception_fp_denorm_src 0
		.amdhsa_exception_fp_ieee_div_zero 0
		.amdhsa_exception_fp_ieee_overflow 0
		.amdhsa_exception_fp_ieee_underflow 0
		.amdhsa_exception_fp_ieee_inexact 0
		.amdhsa_exception_int_div_zero 0
	.end_amdhsa_kernel
	.text
.Lfunc_end0:
	.size	bluestein_single_back_len180_dim1_dp_op_CI_CI, .Lfunc_end0-bluestein_single_back_len180_dim1_dp_op_CI_CI
                                        ; -- End function
	.section	.AMDGPU.csdata,"",@progbits
; Kernel info:
; codeLenInByte = 7876
; NumSgprs: 26
; NumVgprs: 106
; ScratchSize: 0
; MemoryBound: 0
; FloatMode: 240
; IeeeMode: 1
; LDSByteSize: 11520 bytes/workgroup (compile time only)
; SGPRBlocks: 3
; VGPRBlocks: 26
; NumSGPRsForWavesPerEU: 26
; NumVGPRsForWavesPerEU: 106
; Occupancy: 2
; WaveLimiterHint : 1
; COMPUTE_PGM_RSRC2:SCRATCH_EN: 0
; COMPUTE_PGM_RSRC2:USER_SGPR: 6
; COMPUTE_PGM_RSRC2:TRAP_HANDLER: 0
; COMPUTE_PGM_RSRC2:TGID_X_EN: 1
; COMPUTE_PGM_RSRC2:TGID_Y_EN: 0
; COMPUTE_PGM_RSRC2:TGID_Z_EN: 0
; COMPUTE_PGM_RSRC2:TIDIG_COMP_CNT: 0
	.type	__hip_cuid_341c0bee698b9dee,@object ; @__hip_cuid_341c0bee698b9dee
	.section	.bss,"aw",@nobits
	.globl	__hip_cuid_341c0bee698b9dee
__hip_cuid_341c0bee698b9dee:
	.byte	0                               ; 0x0
	.size	__hip_cuid_341c0bee698b9dee, 1

	.ident	"AMD clang version 19.0.0git (https://github.com/RadeonOpenCompute/llvm-project roc-6.4.0 25133 c7fe45cf4b819c5991fe208aaa96edf142730f1d)"
	.section	".note.GNU-stack","",@progbits
	.addrsig
	.addrsig_sym __hip_cuid_341c0bee698b9dee
	.amdgpu_metadata
---
amdhsa.kernels:
  - .args:
      - .actual_access:  read_only
        .address_space:  global
        .offset:         0
        .size:           8
        .value_kind:     global_buffer
      - .actual_access:  read_only
        .address_space:  global
        .offset:         8
        .size:           8
        .value_kind:     global_buffer
      - .actual_access:  read_only
        .address_space:  global
        .offset:         16
        .size:           8
        .value_kind:     global_buffer
      - .actual_access:  read_only
        .address_space:  global
        .offset:         24
        .size:           8
        .value_kind:     global_buffer
      - .actual_access:  read_only
        .address_space:  global
        .offset:         32
        .size:           8
        .value_kind:     global_buffer
      - .offset:         40
        .size:           8
        .value_kind:     by_value
      - .address_space:  global
        .offset:         48
        .size:           8
        .value_kind:     global_buffer
      - .address_space:  global
        .offset:         56
        .size:           8
        .value_kind:     global_buffer
      - .address_space:  global
        .offset:         64
        .size:           8
        .value_kind:     global_buffer
      - .address_space:  global
        .offset:         72
        .size:           8
        .value_kind:     global_buffer
      - .offset:         80
        .size:           4
        .value_kind:     by_value
      - .address_space:  global
        .offset:         88
        .size:           8
        .value_kind:     global_buffer
      - .address_space:  global
        .offset:         96
        .size:           8
        .value_kind:     global_buffer
    .group_segment_fixed_size: 11520
    .kernarg_segment_align: 8
    .kernarg_segment_size: 104
    .language:       OpenCL C
    .language_version:
      - 2
      - 0
    .max_flat_workgroup_size: 240
    .name:           bluestein_single_back_len180_dim1_dp_op_CI_CI
    .private_segment_fixed_size: 0
    .sgpr_count:     26
    .sgpr_spill_count: 0
    .symbol:         bluestein_single_back_len180_dim1_dp_op_CI_CI.kd
    .uniform_work_group_size: 1
    .uses_dynamic_stack: false
    .vgpr_count:     106
    .vgpr_spill_count: 0
    .wavefront_size: 64
amdhsa.target:   amdgcn-amd-amdhsa--gfx906
amdhsa.version:
  - 1
  - 2
...

	.end_amdgpu_metadata
